;; amdgpu-corpus repo=ROCm/rocFFT kind=compiled arch=gfx950 opt=O3
	.text
	.amdgcn_target "amdgcn-amd-amdhsa--gfx950"
	.amdhsa_code_object_version 6
	.protected	fft_rtc_fwd_len121_factors_11_11_wgs_121_tpt_11_half_op_CI_CI_sbrc_unaligned ; -- Begin function fft_rtc_fwd_len121_factors_11_11_wgs_121_tpt_11_half_op_CI_CI_sbrc_unaligned
	.globl	fft_rtc_fwd_len121_factors_11_11_wgs_121_tpt_11_half_op_CI_CI_sbrc_unaligned
	.p2align	8
	.type	fft_rtc_fwd_len121_factors_11_11_wgs_121_tpt_11_half_op_CI_CI_sbrc_unaligned,@function
fft_rtc_fwd_len121_factors_11_11_wgs_121_tpt_11_half_op_CI_CI_sbrc_unaligned: ; @fft_rtc_fwd_len121_factors_11_11_wgs_121_tpt_11_half_op_CI_CI_sbrc_unaligned
; %bb.0:
	s_load_dwordx8 s[4:11], s[0:1], 0x0
	s_mov_b32 s30, 0
	s_mov_b32 s28, 3
	;; [unrolled: 1-line block ×3, first 2 shown]
	s_mov_b64 s[34:35], 2
	s_waitcnt lgkmcnt(0)
	s_load_dword s33, s[8:9], 0x8
	s_load_dwordx4 s[12:15], s[0:1], 0x58
	s_load_dwordx2 s[26:27], s[0:1], 0x20
	s_load_dwordx4 s[20:23], s[10:11], 0x0
	s_waitcnt lgkmcnt(0)
	s_load_dwordx4 s[16:19], s[26:27], 0x0
	s_add_i32 s3, s33, -1
	s_mul_hi_u32 s3, s3, 0xba2e8ba3
	s_lshr_b32 s24, s3, 3
	s_add_i32 s3, s24, 1
	v_cvt_f32_u32_e32 v1, s3
	s_not_b32 s0, s24
	v_rcp_iflag_f32_e32 v1, v1
	s_nop 0
	v_mul_f32_e32 v1, 0x4f7ffffe, v1
	v_cvt_u32_f32_e32 v1, v1
	s_nop 0
	v_readfirstlane_b32 s1, v1
	s_mul_i32 s0, s0, s1
	s_mul_hi_u32 s0, s1, s0
	s_add_i32 s0, s1, s0
	s_mul_hi_u32 s0, s2, s0
	s_mul_i32 s0, s0, s3
	s_sub_i32 s0, s2, s0
	s_waitcnt lgkmcnt(0)
	s_sub_i32 s19, s0, s3
	s_cmp_ge_u32 s0, s3
	s_cselect_b32 s0, s19, s0
	s_sub_i32 s19, s0, s3
	s_cmp_ge_u32 s0, s3
	s_cselect_b32 s40, s19, s0
	s_sub_i32 s0, 0, s3
	s_mul_i32 s0, s0, s1
	s_mul_hi_u32 s0, s1, s0
	s_add_i32 s1, s1, s0
	s_mul_hi_u32 s0, s2, s1
	s_mul_i32 s1, s0, s3
	s_sub_i32 s1, s2, s1
	s_add_i32 s29, s0, 1
	s_sub_i32 s31, s1, s3
	s_cmp_ge_u32 s1, s3
	s_cselect_b32 s0, s29, s0
	s_cselect_b32 s1, s31, s1
	s_add_i32 s29, s0, 1
	s_mul_i32 s19, s40, 11
	s_cmp_ge_u32 s1, s3
	s_mul_i32 s24, s17, s19
	s_mul_hi_u32 s25, s16, s19
	s_cselect_b32 s41, s29, s0
	v_cmp_gt_u64_e64 s[0:1], s[6:7], 2
	s_mul_i32 s43, s19, s22
	s_add_i32 s25, s25, s24
	s_mul_i32 s24, s16, s19
	s_and_b64 vcc, exec, s[0:1]
	s_cbranch_vccz .LBB0_8
; %bb.1:
	v_mov_b64_e32 v[2:3], s[6:7]
	s_mov_b32 s44, s3
	s_mov_b32 s29, s41
.LBB0_2:                                ; =>This Inner Loop Header: Depth=1
	s_lshl_b64 s[34:35], s[34:35], 3
	s_add_u32 s0, s8, s34
	s_addc_u32 s1, s9, s35
	s_load_dwordx2 s[36:37], s[0:1], 0x0
	s_waitcnt lgkmcnt(0)
	s_mov_b32 s31, s37
	s_cmp_lg_u64 s[30:31], 0
	s_cbranch_scc0 .LBB0_7
; %bb.3:                                ;   in Loop: Header=BB0_2 Depth=1
	v_cvt_f32_u32_e32 v1, s36
	v_cvt_f32_u32_e32 v4, s37
	s_sub_u32 s0, 0, s36
	s_subb_u32 s1, 0, s37
	v_fmac_f32_e32 v1, 0x4f800000, v4
	v_rcp_f32_e32 v1, v1
	s_nop 0
	v_mul_f32_e32 v1, 0x5f7ffffc, v1
	v_mul_f32_e32 v4, 0x2f800000, v1
	v_trunc_f32_e32 v4, v4
	v_fmac_f32_e32 v1, 0xcf800000, v4
	v_cvt_u32_f32_e32 v4, v4
	v_cvt_u32_f32_e32 v1, v1
	v_readfirstlane_b32 s31, v4
	v_readfirstlane_b32 s38, v1
	s_mul_i32 s39, s0, s31
	s_mul_hi_u32 s46, s0, s38
	s_mul_i32 s45, s1, s38
	s_add_i32 s39, s46, s39
	s_mul_i32 s47, s0, s38
	s_add_i32 s39, s39, s45
	s_mul_hi_u32 s45, s38, s39
	s_mul_i32 s46, s38, s39
	s_mul_hi_u32 s38, s38, s47
	s_add_u32 s38, s38, s46
	s_addc_u32 s45, 0, s45
	s_mul_hi_u32 s48, s31, s47
	s_mul_i32 s47, s31, s47
	s_add_u32 s38, s38, s47
	s_mul_hi_u32 s46, s31, s39
	s_addc_u32 s38, s45, s48
	s_addc_u32 s45, s46, 0
	s_mul_i32 s39, s31, s39
	s_add_u32 s38, s38, s39
	s_addc_u32 s39, 0, s45
	v_add_co_u32_e32 v1, vcc, s38, v1
	s_cmp_lg_u64 vcc, 0
	s_addc_u32 s31, s31, s39
	v_readfirstlane_b32 s39, v1
	s_mul_i32 s38, s0, s31
	s_mul_hi_u32 s45, s0, s39
	s_add_i32 s38, s45, s38
	s_mul_i32 s1, s1, s39
	s_add_i32 s38, s38, s1
	s_mul_i32 s0, s0, s39
	s_mul_hi_u32 s45, s31, s0
	s_mul_i32 s46, s31, s0
	s_mul_i32 s48, s39, s38
	s_mul_hi_u32 s0, s39, s0
	s_mul_hi_u32 s47, s39, s38
	s_add_u32 s0, s0, s48
	s_addc_u32 s39, 0, s47
	s_add_u32 s0, s0, s46
	s_mul_hi_u32 s1, s31, s38
	s_addc_u32 s0, s39, s45
	s_addc_u32 s1, s1, 0
	s_mul_i32 s38, s31, s38
	s_add_u32 s0, s0, s38
	s_addc_u32 s1, 0, s1
	v_add_co_u32_e32 v1, vcc, s0, v1
	s_cmp_lg_u64 vcc, 0
	s_addc_u32 s0, s31, s1
	v_readfirstlane_b32 s31, v1
	s_mul_hi_u32 s1, s29, s0
	s_mul_i32 s0, s29, s0
	s_mul_hi_u32 s31, s29, s31
	s_add_u32 s0, s31, s0
	s_addc_u32 s31, 0, s1
	s_mul_i32 s0, s37, s31
	s_mul_hi_u32 s1, s36, s31
	s_add_i32 s38, s1, s0
	s_mul_i32 s1, s36, s31
	v_mov_b32_e32 v1, s1
	s_sub_i32 s0, 0, s38
	v_sub_co_u32_e32 v1, vcc, s29, v1
	s_cmp_lg_u64 vcc, 0
	s_subb_u32 s39, s0, s37
	v_subrev_co_u32_e64 v4, s[0:1], s36, v1
	s_cmp_lg_u64 s[0:1], 0
	s_subb_u32 s0, s39, 0
	s_cmp_ge_u32 s0, s37
	v_readfirstlane_b32 s39, v4
	s_cselect_b32 s1, -1, 0
	s_cmp_ge_u32 s39, s36
	s_cselect_b32 s39, -1, 0
	s_cmp_eq_u32 s0, s37
	s_cselect_b32 s0, s39, s1
	s_add_u32 s1, s31, 1
	s_addc_u32 s39, 0, 0
	s_add_u32 s45, s31, 2
	s_addc_u32 s46, 0, 0
	s_cmp_lg_u32 s0, 0
	s_cselect_b32 s0, s45, s1
	s_cselect_b32 s1, s46, s39
	s_cmp_lg_u64 vcc, 0
	s_subb_u32 s38, 0, s38
	s_cmp_ge_u32 s38, s37
	v_readfirstlane_b32 s45, v1
	s_cselect_b32 s39, -1, 0
	s_cmp_ge_u32 s45, s36
	s_cselect_b32 s45, -1, 0
	s_cmp_eq_u32 s38, s37
	s_cselect_b32 s38, s45, s39
	s_cmp_lg_u32 s38, 0
	s_cselect_b32 s1, s1, 0
	s_cselect_b32 s0, s0, s31
	s_cbranch_execnz .LBB0_5
.LBB0_4:                                ;   in Loop: Header=BB0_2 Depth=1
	v_cvt_f32_u32_e32 v1, s36
	s_sub_i32 s0, 0, s36
	v_rcp_iflag_f32_e32 v1, v1
	s_nop 0
	v_mul_f32_e32 v1, 0x4f7ffffe, v1
	v_cvt_u32_f32_e32 v1, v1
	s_nop 0
	v_readfirstlane_b32 s1, v1
	s_mul_i32 s0, s0, s1
	s_mul_hi_u32 s0, s1, s0
	s_add_i32 s1, s1, s0
	s_mul_hi_u32 s0, s29, s1
	s_mul_i32 s31, s0, s36
	s_sub_i32 s31, s29, s31
	s_add_i32 s1, s0, 1
	s_sub_i32 s38, s31, s36
	s_cmp_ge_u32 s31, s36
	s_cselect_b32 s0, s1, s0
	s_cselect_b32 s31, s38, s31
	s_add_i32 s1, s0, 1
	s_cmp_ge_u32 s31, s36
	s_cselect_b32 s0, s1, s0
	s_mov_b32 s1, s30
.LBB0_5:                                ;   in Loop: Header=BB0_2 Depth=1
	s_mul_i32 s31, s0, s37
	s_mul_hi_u32 s37, s0, s36
	s_add_i32 s31, s37, s31
	s_mul_i32 s1, s1, s36
	s_add_i32 s31, s31, s1
	s_mul_i32 s1, s0, s36
	s_sub_u32 s1, s29, s1
	s_subb_u32 s29, 0, s31
	s_add_u32 s38, s10, s34
	s_addc_u32 s39, s11, s35
	s_load_dwordx2 s[38:39], s[38:39], 0x0
	s_mul_i32 s44, s44, s36
	s_waitcnt lgkmcnt(0)
	s_mul_i32 s31, s38, s29
	s_mul_hi_u32 s37, s38, s1
	s_add_i32 s31, s37, s31
	s_mul_i32 s37, s39, s1
	s_add_i32 s31, s31, s37
	s_mul_i32 s37, s38, s1
	s_add_u32 s43, s37, s43
	s_addc_u32 s42, s31, s42
	s_add_u32 s34, s26, s34
	s_addc_u32 s35, s27, s35
	s_load_dwordx2 s[34:35], s[34:35], 0x0
	s_waitcnt lgkmcnt(0)
	s_mul_i32 s29, s34, s29
	s_mul_hi_u32 s31, s34, s1
	s_add_i32 s29, s31, s29
	s_mul_i32 s31, s35, s1
	s_add_i32 s29, s29, s31
	s_mul_i32 s1, s34, s1
	s_add_u32 s24, s1, s24
	s_addc_u32 s25, s29, s25
	s_mov_b32 s29, s30
	v_cmp_ge_u64_e32 vcc, s[28:29], v[2:3]
	s_mov_b64 s[34:35], s[28:29]
	s_add_i32 s28, s28, 1
	s_cbranch_vccnz .LBB0_9
; %bb.6:                                ;   in Loop: Header=BB0_2 Depth=1
	s_mov_b32 s29, s0
	s_branch .LBB0_2
.LBB0_7:                                ;   in Loop: Header=BB0_2 Depth=1
                                        ; implicit-def: $sgpr0_sgpr1
	s_branch .LBB0_4
.LBB0_8:
	s_mov_b32 s34, s41
	s_branch .LBB0_10
.LBB0_9:
	v_cvt_f32_u32_e32 v1, s44
	s_sub_i32 s0, 0, s44
	v_rcp_iflag_f32_e32 v1, v1
	s_nop 0
	v_mul_f32_e32 v1, 0x4f7ffffe, v1
	v_cvt_u32_f32_e32 v1, v1
	s_nop 0
	v_readfirstlane_b32 s1, v1
	s_mul_i32 s0, s0, s1
	s_mul_hi_u32 s0, s1, s0
	s_add_i32 s1, s1, s0
	s_mul_hi_u32 s0, s2, s1
	s_mul_i32 s1, s0, s44
	s_sub_i32 s1, s2, s1
	s_add_i32 s8, s0, 1
	s_sub_i32 s9, s1, s44
	s_cmp_ge_u32 s1, s44
	s_cselect_b32 s0, s8, s0
	s_cselect_b32 s1, s9, s1
	s_add_i32 s8, s0, 1
	s_cmp_ge_u32 s1, s44
	s_cselect_b32 s34, s8, s0
.LBB0_10:
	s_lshl_b64 s[0:1], s[6:7], 3
	s_add_u32 s6, s10, s0
	s_addc_u32 s7, s11, s1
	s_load_dwordx2 s[6:7], s[6:7], 0x0
	v_mul_u32_u24_e32 v1, 0x21e, v0
	v_lshrrev_b32_e32 v2, 16, v1
	v_mul_lo_u16_e32 v1, 0x79, v2
	v_sub_u16_e32 v3, v0, v1
	s_waitcnt lgkmcnt(0)
	s_mul_i32 s7, s7, s34
	s_mul_hi_u32 s8, s6, s34
	s_mul_i32 s6, s6, s34
	s_add_i32 s8, s8, s7
	s_add_u32 s10, s6, s43
	s_addc_u32 s11, s8, s42
	s_add_u32 s0, s26, s0
	s_addc_u32 s1, s27, s1
	s_load_dwordx2 s[6:7], s[0:1], 0x0
	s_add_i32 s8, s19, 11
	s_cmp_le_u32 s8, s33
	s_cselect_b64 s[8:9], -1, 0
	s_mov_b64 s[0:1], -1
	s_and_b64 vcc, exec, s[8:9]
	s_cbranch_vccnz .LBB0_22
; %bb.11:
	v_add_u32_e32 v1, s19, v2
	v_cmp_gt_u32_e32 vcc, s33, v1
	s_and_saveexec_b64 s[26:27], vcc
	s_cbranch_execz .LBB0_21
; %bb.12:
	v_mad_u64_u32 v[4:5], s[0:1], s20, v3, 0
	v_mov_b32_e32 v6, v5
	v_mad_u64_u32 v[6:7], s[0:1], s21, v3, v[6:7]
	s_lshl_b64 s[0:1], s[10:11], 2
	s_add_u32 s0, s12, s0
	v_mov_b32_e32 v5, v6
	s_addc_u32 s1, s13, s1
	v_lshl_add_u64 v[4:5], v[4:5], 2, s[0:1]
	s_sub_i32 s0, s2, s40
	s_mul_i32 s0, s0, 11
	s_add_i32 s0, s0, s33
	v_sub_u32_e32 v6, s0, v2
	v_mad_u64_u32 v[6:7], s[0:1], s2, -11, v[6:7]
	v_cmp_gt_u32_e32 vcc, 12, v6
	v_cmp_lt_u32_e64 s[0:1], 11, v6
	v_mov_b32_e32 v7, 0
	s_and_saveexec_b64 s[28:29], s[0:1]
	s_cbranch_execz .LBB0_18
; %bb.13:
	s_mul_i32 s0, s41, s3
	s_cmp_eq_u64 s[22:23], 1
	s_mul_i32 s0, s0, 11
	s_cselect_b64 s[30:31], -1, 0
	s_add_i32 s0, s0, s33
	v_subrev_u32_e32 v8, s0, v2
	v_mad_u64_u32 v[8:9], s[0:1], s2, 11, v[8:9]
	v_cmp_ge_u32_e64 s[0:1], v8, v2
	s_and_b64 s[30:31], s[30:31], s[0:1]
	s_mov_b64 s[0:1], -1
	v_mov_b32_e32 v7, 0
	s_and_saveexec_b64 s[2:3], s[30:31]
	s_cbranch_execz .LBB0_17
; %bb.14:
	v_and_b32_e32 v7, -2, v6
	s_mov_b32 s23, 0
	v_lshl_add_u32 v8, v3, 2, 0
	v_mov_b32_e32 v1, v2
	s_mov_b32 s35, 1
	s_mov_b64 s[30:31], 0
	v_mov_b32_e32 v11, 0
	s_movk_i32 s36, 0x1e4
	v_mov_b32_e32 v9, v7
.LBB0_15:                               ; =>This Inner Loop Header: Depth=1
	v_add_u32_e32 v14, s23, v2
	v_mul_lo_u32 v10, v14, s22
	v_lshl_add_u64 v[12:13], v[10:11], 2, v[4:5]
	global_load_dwordx2 v[12:13], v[12:13], off
	v_add_u32_e32 v10, s35, v1
	v_add_u32_e32 v9, -2, v9
	v_mad_u64_u32 v[14:15], s[0:1], v14, s36, v[8:9]
	v_mad_u64_u32 v[16:17], s[0:1], v10, s36, v[8:9]
	s_add_i32 s23, s23, 2
	s_add_i32 s35, s35, 2
	v_cmp_eq_u32_e64 s[0:1], 0, v9
	s_or_b64 s[30:31], s[0:1], s[30:31]
	s_waitcnt vmcnt(0)
	ds_write_b32 v14, v12
	ds_write_b32 v16, v13
	s_andn2_b64 exec, exec, s[30:31]
	s_cbranch_execnz .LBB0_15
; %bb.16:
	s_or_b64 exec, exec, s[30:31]
	v_cmp_ne_u32_e64 s[0:1], v6, v7
	s_orn2_b64 s[0:1], s[0:1], exec
.LBB0_17:
	s_or_b64 exec, exec, s[2:3]
	s_andn2_b64 s[2:3], vcc, exec
	s_and_b64 s[0:1], s[0:1], exec
	s_or_b64 vcc, s[2:3], s[0:1]
.LBB0_18:
	s_or_b64 exec, exec, s[28:29]
	s_and_b64 exec, exec, vcc
	s_cbranch_execz .LBB0_21
; %bb.19:
	v_add_u32_e32 v7, v7, v2
	s_movk_i32 s0, 0x1e4
	v_mul_lo_u32 v1, v7, s0
	v_lshlrev_b32_e32 v6, 2, v3
	v_add3_u32 v1, v1, v6, 0
	v_mul_lo_u32 v6, v7, s22
	v_add_u32_e32 v8, s19, v7
	s_mov_b64 s[0:1], 0
	v_mov_b32_e32 v7, 0
.LBB0_20:                               ; =>This Inner Loop Header: Depth=1
	v_lshl_add_u64 v[10:11], v[6:7], 2, v[4:5]
	global_load_dword v9, v[10:11], off
	v_add_u32_e32 v8, 1, v8
	v_cmp_le_u32_e32 vcc, s33, v8
	v_add_u32_e32 v6, s22, v6
	s_or_b64 s[0:1], vcc, s[0:1]
	s_waitcnt vmcnt(0)
	ds_write_b32 v1, v9
	v_add_u32_e32 v1, 0x1e4, v1
	s_andn2_b64 exec, exec, s[0:1]
	s_cbranch_execnz .LBB0_20
.LBB0_21:
	s_or_b64 exec, exec, s[26:27]
	s_mov_b64 s[0:1], 0
.LBB0_22:
	s_andn2_b64 vcc, exec, s[0:1]
	s_cbranch_vccnz .LBB0_24
; %bb.23:
	v_mad_u64_u32 v[4:5], s[0:1], s20, v3, 0
	v_mov_b32_e32 v6, v5
	v_mad_u64_u32 v[6:7], s[0:1], s21, v3, v[6:7]
	s_lshl_b64 s[0:1], s[10:11], 2
	s_add_u32 s0, s12, s0
	v_mov_b32_e32 v5, v6
	s_addc_u32 s1, s13, s1
	v_mul_lo_u32 v6, s22, v2
	v_mov_b32_e32 v7, 0
	v_lshl_add_u64 v[4:5], v[4:5], 2, s[0:1]
	v_lshl_add_u64 v[8:9], v[6:7], 2, v[4:5]
	v_add_u32_e32 v6, s22, v6
	v_lshl_add_u64 v[10:11], v[6:7], 2, v[4:5]
	v_add_u32_e32 v6, s22, v6
	;; [unrolled: 2-line block ×8, first 2 shown]
	global_load_dword v1, v[8:9], off
	global_load_dword v24, v[10:11], off
	;; [unrolled: 1-line block ×8, first 2 shown]
	v_lshl_add_u64 v[8:9], v[6:7], 2, v[4:5]
	v_add_u32_e32 v6, s22, v6
	v_lshl_add_u64 v[10:11], v[6:7], 2, v[4:5]
	v_add_u32_e32 v6, s22, v6
	v_lshl_add_u64 v[4:5], v[6:7], 2, v[4:5]
	global_load_dword v6, v[8:9], off
	global_load_dword v7, v[10:11], off
	;; [unrolled: 1-line block ×3, first 2 shown]
	v_mul_u32_u24_e32 v2, 0x1e4, v2
	v_lshlrev_b32_e32 v3, 2, v3
	v_add3_u32 v2, 0, v2, v3
	s_waitcnt vmcnt(9)
	ds_write2_b32 v2, v1, v24 offset1:121
	v_add_u32_e32 v1, 0x200, v2
	s_waitcnt vmcnt(7)
	ds_write2_b32 v1, v25, v26 offset0:114 offset1:235
	v_add_u32_e32 v1, 0x600, v2
	s_waitcnt vmcnt(5)
	ds_write2_b32 v1, v27, v28 offset0:100 offset1:221
	;; [unrolled: 3-line block ×4, first 2 shown]
	s_waitcnt vmcnt(0)
	ds_write_b32 v2, v12 offset:4840
.LBB0_24:
	s_movk_i32 s0, 0x1746
	v_mul_u32_u24_sdwa v1, v0, s0 dst_sel:DWORD dst_unused:UNUSED_PAD src0_sel:WORD_0 src1_sel:DWORD
	v_lshrrev_b32_e32 v1, 16, v1
	v_add_u32_e32 v2, s19, v1
	s_mov_b32 s0, 0xba2e8ba3
	v_mul_hi_u32 v3, v2, s0
	v_lshrrev_b32_e32 v3, 3, v3
	v_mul_lo_u32 v3, v3, 11
	s_mov_b32 s0, 0x1745d175
	v_sub_u32_e32 v2, v2, v3
	v_mul_hi_u32 v3, v0, s0
	v_mul_u32_u24_e32 v3, 11, v3
	v_mul_u32_u24_e32 v2, 0x79, v2
	v_sub_u32_e32 v0, v0, v3
	v_lshlrev_b32_e32 v2, 2, v2
	v_lshlrev_b32_e32 v3, 2, v0
	v_add3_u32 v24, 0, v2, v3
	s_waitcnt lgkmcnt(0)
	s_barrier
	ds_read_b32 v14, v24
	v_add3_u32 v2, 0, v3, v2
	ds_read2_b32 v[4:5], v2 offset0:11 offset1:22
	ds_read2_b32 v[6:7], v2 offset0:33 offset1:44
	;; [unrolled: 1-line block ×5, first 2 shown]
	s_movk_i32 s2, 0x3abb
	s_movk_i32 s0, 0x36a6
	s_waitcnt lgkmcnt(4)
	v_add_f16_e32 v3, v4, v14
	v_add_f16_sdwa v15, v4, v14 dst_sel:DWORD dst_unused:UNUSED_PAD src0_sel:WORD_1 src1_sel:WORD_1
	v_add_f16_e32 v3, v3, v5
	v_add_f16_sdwa v15, v15, v5 dst_sel:DWORD dst_unused:UNUSED_PAD src0_sel:DWORD src1_sel:WORD_1
	s_waitcnt lgkmcnt(3)
	v_add_f16_e32 v3, v3, v6
	v_add_f16_sdwa v15, v15, v6 dst_sel:DWORD dst_unused:UNUSED_PAD src0_sel:DWORD src1_sel:WORD_1
	v_add_f16_e32 v3, v3, v7
	v_add_f16_sdwa v15, v15, v7 dst_sel:DWORD dst_unused:UNUSED_PAD src0_sel:DWORD src1_sel:WORD_1
	s_waitcnt lgkmcnt(2)
	v_add_f16_e32 v3, v3, v8
	v_add_f16_sdwa v15, v15, v8 dst_sel:DWORD dst_unused:UNUSED_PAD src0_sel:DWORD src1_sel:WORD_1
	;; [unrolled: 5-line block ×4, first 2 shown]
	v_add_f16_e32 v3, v3, v13
	v_add_f16_sdwa v15, v15, v13 dst_sel:WORD_1 dst_unused:UNUSED_PAD src0_sel:DWORD src1_sel:WORD_1
	v_add_f16_sdwa v16, v13, v4 dst_sel:DWORD dst_unused:UNUSED_PAD src0_sel:WORD_1 src1_sel:WORD_1
	v_or_b32_e32 v3, v15, v3
	v_add_f16_e32 v15, v13, v4
	v_sub_f16_e32 v17, v4, v13
	v_sub_f16_sdwa v4, v4, v13 dst_sel:DWORD dst_unused:UNUSED_PAD src0_sel:WORD_1 src1_sel:WORD_1
	v_mul_f16_e32 v13, 0xb853, v4
	v_mul_f16_e32 v19, 0xb853, v17
	;; [unrolled: 1-line block ×5, first 2 shown]
	s_mov_b32 s1, 0xb08e
	v_mul_f16_e32 v28, 0xbbeb, v17
	v_mul_f16_e32 v30, 0xba0c, v4
	s_mov_b32 s3, 0xb93d
	v_mul_f16_e32 v32, 0xba0c, v17
	v_mul_f16_e32 v4, 0xb482, v4
	s_mov_b32 s10, 0xbbad
	v_mul_f16_e32 v17, 0xb482, v17
	v_fma_f16 v18, v15, s2, -v13
	v_fma_f16 v20, v16, s2, v19
	v_fma_f16 v13, v15, s2, v13
	v_fma_f16 v19, v16, s2, -v19
	v_fma_f16 v22, v15, s0, -v21
	v_fma_f16 v25, v16, s0, v23
	v_fma_f16 v21, v15, s0, v21
	v_fma_f16 v23, v16, s0, -v23
	;; [unrolled: 4-line block ×5, first 2 shown]
	v_add_f16_e32 v18, v18, v14
	v_add_f16_sdwa v20, v20, v14 dst_sel:DWORD dst_unused:UNUSED_PAD src0_sel:DWORD src1_sel:WORD_1
	v_add_f16_e32 v13, v13, v14
	v_add_f16_sdwa v19, v19, v14 dst_sel:DWORD dst_unused:UNUSED_PAD src0_sel:DWORD src1_sel:WORD_1
	;; [unrolled: 2-line block ×10, first 2 shown]
	v_add_f16_e32 v15, v12, v5
	v_add_f16_sdwa v16, v12, v5 dst_sel:DWORD dst_unused:UNUSED_PAD src0_sel:WORD_1 src1_sel:WORD_1
	v_sub_f16_e32 v17, v5, v12
	v_sub_f16_sdwa v5, v5, v12 dst_sel:DWORD dst_unused:UNUSED_PAD src0_sel:WORD_1 src1_sel:WORD_1
	v_mul_f16_e32 v12, 0xbb47, v5
	v_fma_f16 v36, v15, s0, -v12
	v_add_f16_e32 v18, v36, v18
	v_mul_f16_e32 v36, 0xbb47, v17
	v_fma_f16 v12, v15, s0, v12
	v_add_f16_e32 v12, v12, v13
	v_fma_f16 v13, v16, s0, -v36
	v_add_f16_e32 v13, v13, v19
	v_mul_f16_e32 v19, 0xba0c, v5
	v_fma_f16 v37, v16, s0, v36
	v_fma_f16 v36, v15, s3, -v19
	v_add_f16_e32 v22, v36, v22
	v_mul_f16_e32 v36, 0xba0c, v17
	v_fma_f16 v19, v15, s3, v19
	v_add_f16_e32 v19, v19, v21
	v_fma_f16 v21, v16, s3, -v36
	v_add_f16_e32 v21, v21, v23
	v_mul_f16_e32 v23, 0x3482, v5
	v_add_f16_e32 v20, v37, v20
	v_fma_f16 v37, v16, s3, v36
	v_fma_f16 v36, v15, s10, -v23
	v_add_f16_e32 v27, v36, v27
	v_mul_f16_e32 v36, 0x3482, v17
	v_fma_f16 v23, v15, s10, v23
	v_add_f16_e32 v23, v23, v26
	v_fma_f16 v26, v16, s10, -v36
	v_add_f16_e32 v26, v26, v28
	v_mul_f16_e32 v28, 0x3beb, v5
	v_add_f16_e32 v25, v37, v25
	v_fma_f16 v37, v16, s10, v36
	v_fma_f16 v36, v15, s1, -v28
	v_add_f16_e32 v31, v36, v31
	v_mul_f16_e32 v36, 0x3beb, v17
	v_fma_f16 v28, v15, s1, v28
	v_add_f16_e32 v28, v28, v30
	v_fma_f16 v30, v16, s1, -v36
	v_mul_f16_e32 v5, 0x3853, v5
	v_add_f16_e32 v30, v30, v32
	v_fma_f16 v32, v15, s2, -v5
	v_mul_f16_e32 v17, 0x3853, v17
	v_fma_f16 v5, v15, s2, v5
	v_add_f16_e32 v4, v5, v4
	v_fma_f16 v5, v16, s2, -v17
	v_add_f16_e32 v29, v37, v29
	v_fma_f16 v37, v16, s1, v36
	v_add_f16_e32 v32, v32, v34
	v_fma_f16 v34, v16, s2, v17
	v_add_f16_e32 v5, v5, v14
	v_add_f16_e32 v14, v11, v6
	v_add_f16_sdwa v15, v11, v6 dst_sel:DWORD dst_unused:UNUSED_PAD src0_sel:WORD_1 src1_sel:WORD_1
	v_sub_f16_e32 v16, v6, v11
	v_sub_f16_sdwa v6, v6, v11 dst_sel:DWORD dst_unused:UNUSED_PAD src0_sel:WORD_1 src1_sel:WORD_1
	v_mul_f16_e32 v11, 0xbbeb, v6
	v_fma_f16 v17, v14, s1, -v11
	v_add_f16_e32 v17, v17, v18
	v_mul_f16_e32 v18, 0xbbeb, v16
	v_fma_f16 v11, v14, s1, v11
	v_add_f16_e32 v11, v11, v12
	v_fma_f16 v12, v15, s1, -v18
	v_add_f16_e32 v12, v12, v13
	v_mul_f16_e32 v13, 0x3482, v6
	v_add_f16_e32 v34, v34, v35
	v_fma_f16 v35, v15, s1, v18
	v_fma_f16 v18, v14, s10, -v13
	v_add_f16_e32 v18, v18, v22
	v_mul_f16_e32 v22, 0x3482, v16
	v_fma_f16 v13, v14, s10, v13
	v_add_f16_e32 v13, v13, v19
	v_fma_f16 v19, v15, s10, -v22
	v_add_f16_e32 v19, v19, v21
	v_mul_f16_e32 v21, 0x3b47, v6
	v_add_f16_e32 v20, v35, v20
	v_fma_f16 v35, v15, s10, v22
	;; [unrolled: 10-line block ×3, first 2 shown]
	v_fma_f16 v27, v14, s2, -v26
	v_add_f16_e32 v27, v27, v31
	v_mul_f16_e32 v31, 0xb853, v16
	v_fma_f16 v26, v14, s2, v26
	v_add_f16_e32 v26, v26, v28
	v_fma_f16 v28, v15, s2, -v31
	v_mul_f16_e32 v6, 0xba0c, v6
	v_add_f16_e32 v28, v28, v30
	v_fma_f16 v30, v14, s3, -v6
	v_mul_f16_e32 v16, 0xba0c, v16
	v_fma_f16 v6, v14, s3, v6
	v_add_f16_e32 v4, v6, v4
	v_fma_f16 v6, v15, s3, -v16
	v_add_f16_e32 v29, v35, v29
	v_fma_f16 v35, v15, s2, v31
	v_fma_f16 v31, v15, s3, v16
	v_add_f16_e32 v5, v6, v5
	v_add_f16_e32 v6, v10, v7
	v_add_f16_sdwa v14, v10, v7 dst_sel:DWORD dst_unused:UNUSED_PAD src0_sel:WORD_1 src1_sel:WORD_1
	v_sub_f16_e32 v15, v7, v10
	v_sub_f16_sdwa v7, v7, v10 dst_sel:DWORD dst_unused:UNUSED_PAD src0_sel:WORD_1 src1_sel:WORD_1
	v_mul_f16_e32 v10, 0xba0c, v7
	v_fma_f16 v16, v6, s3, -v10
	v_add_f16_e32 v16, v16, v17
	v_mul_f16_e32 v17, 0xba0c, v15
	v_fma_f16 v10, v6, s3, v10
	v_add_f16_e32 v10, v10, v11
	v_fma_f16 v11, v14, s3, -v17
	v_add_f16_e32 v11, v11, v12
	v_mul_f16_e32 v12, 0x3beb, v7
	v_add_f16_e32 v30, v30, v32
	v_fma_f16 v32, v14, s3, v17
	v_fma_f16 v17, v6, s1, -v12
	v_add_f16_e32 v17, v17, v18
	v_mul_f16_e32 v18, 0x3beb, v15
	v_fma_f16 v12, v6, s1, v12
	v_add_f16_e32 v20, v32, v20
	v_fma_f16 v32, v14, s1, v18
	v_add_f16_e32 v12, v12, v13
	v_fma_f16 v13, v14, s1, -v18
	v_mul_f16_e32 v18, 0xb853, v7
	v_add_f16_e32 v13, v13, v19
	v_fma_f16 v19, v6, s2, -v18
	v_add_f16_e32 v19, v19, v22
	v_mul_f16_e32 v22, 0xb853, v15
	v_fma_f16 v18, v6, s2, v18
	v_add_f16_e32 v25, v32, v25
	v_fma_f16 v32, v14, s2, v22
	v_add_f16_e32 v18, v18, v21
	v_fma_f16 v21, v14, s2, -v22
	v_mul_f16_e32 v22, 0xb482, v7
	v_add_f16_e32 v21, v21, v23
	v_fma_f16 v23, v6, s10, -v22
	v_add_f16_e32 v23, v23, v27
	v_mul_f16_e32 v27, 0xb482, v15
	v_fma_f16 v22, v6, s10, v22
	v_mul_f16_e32 v7, 0x3b47, v7
	v_add_f16_e32 v29, v32, v29
	v_fma_f16 v32, v14, s10, v27
	v_add_f16_e32 v22, v22, v26
	v_fma_f16 v26, v14, s10, -v27
	v_fma_f16 v27, v6, s0, -v7
	v_mul_f16_e32 v15, 0x3b47, v15
	v_fma_f16 v6, v6, s0, v7
	v_add_f16_e32 v4, v6, v4
	v_fma_f16 v6, v14, s0, -v15
	v_add_f16_e32 v26, v26, v28
	v_fma_f16 v28, v14, s0, v15
	v_add_f16_e32 v5, v6, v5
	v_add_f16_e32 v6, v9, v8
	v_add_f16_sdwa v7, v9, v8 dst_sel:DWORD dst_unused:UNUSED_PAD src0_sel:WORD_1 src1_sel:WORD_1
	v_sub_f16_e32 v14, v8, v9
	v_sub_f16_sdwa v8, v8, v9 dst_sel:DWORD dst_unused:UNUSED_PAD src0_sel:WORD_1 src1_sel:WORD_1
	v_mul_f16_e32 v9, 0xb482, v8
	v_fma_f16 v15, v6, s10, -v9
	v_add_f16_e32 v15, v15, v16
	v_mul_f16_e32 v16, 0xb482, v14
	v_fma_f16 v9, v6, s10, v9
	v_add_f16_e32 v9, v9, v10
	v_fma_f16 v10, v7, s10, -v16
	v_add_f16_e32 v10, v10, v11
	v_mul_f16_e32 v11, 0x3853, v8
	v_add_f16_e32 v27, v27, v30
	v_fma_f16 v30, v7, s10, v16
	v_fma_f16 v16, v6, s2, -v11
	v_add_f16_e32 v16, v16, v17
	v_mul_f16_e32 v17, 0x3853, v14
	v_fma_f16 v11, v6, s2, v11
	v_add_f16_e32 v11, v11, v12
	v_fma_f16 v12, v7, s2, -v17
	v_add_f16_e32 v12, v12, v13
	v_mul_f16_e32 v13, 0xba0c, v8
	v_add_f16_e32 v20, v30, v20
	v_fma_f16 v30, v7, s2, v17
	v_fma_f16 v17, v6, s3, -v13
	v_add_f16_e32 v17, v17, v19
	v_mul_f16_e32 v19, 0xba0c, v14
	v_fma_f16 v13, v6, s3, v13
	v_add_f16_e32 v25, v30, v25
	v_fma_f16 v30, v7, s3, v19
	v_add_f16_e32 v13, v13, v18
	v_fma_f16 v18, v7, s3, -v19
	v_mul_f16_e32 v19, 0x3b47, v8
	v_add_f16_e32 v18, v18, v21
	v_fma_f16 v21, v6, s0, -v19
	v_add_f16_e32 v21, v21, v23
	v_mul_f16_e32 v23, 0x3b47, v14
	v_fma_f16 v19, v6, s0, v19
	v_mul_f16_e32 v8, 0xbbeb, v8
	v_add_f16_e32 v33, v37, v33
	v_add_f16_e32 v29, v30, v29
	v_fma_f16 v30, v7, s0, v23
	v_add_f16_e32 v19, v19, v22
	v_fma_f16 v22, v7, s0, -v23
	v_fma_f16 v23, v6, s1, -v8
	v_mul_f16_e32 v14, 0xbbeb, v14
	v_fma_f16 v6, v6, s1, v8
	v_add_f16_e32 v33, v35, v33
	v_add_f16_e32 v4, v6, v4
	v_fma_f16 v6, v7, s1, -v14
	v_add_f16_e32 v31, v31, v34
	v_add_f16_e32 v32, v32, v33
	;; [unrolled: 1-line block ×3, first 2 shown]
	v_mad_u32_u24 v6, v0, 40, v2
	v_add_f16_e32 v28, v28, v31
	v_add_f16_e32 v30, v30, v32
	;; [unrolled: 1-line block ×3, first 2 shown]
	v_fma_f16 v26, v7, s1, v14
	s_barrier
	ds_write_b32 v6, v3
	v_pack_b32_f16 v3, v16, v25
	v_pack_b32_f16 v7, v15, v20
	v_add_f16_e32 v23, v23, v27
	v_add_f16_e32 v26, v26, v28
	ds_write2_b32 v6, v7, v3 offset0:1 offset1:2
	v_pack_b32_f16 v3, v21, v30
	v_pack_b32_f16 v7, v17, v29
	ds_write2_b32 v6, v7, v3 offset0:3 offset1:4
	v_pack_b32_f16 v3, v4, v5
	v_pack_b32_f16 v4, v23, v26
	;; [unrolled: 3-line block ×4, first 2 shown]
	ds_write2_b32 v6, v4, v3 offset0:9 offset1:10
	v_mul_u32_u24_e32 v3, 10, v0
	v_lshlrev_b32_e32 v3, 2, v3
	s_waitcnt lgkmcnt(0)
	s_barrier
	global_load_dwordx4 v[4:7], v3, s[4:5]
	global_load_dwordx4 v[8:11], v3, s[4:5] offset:16
	global_load_dwordx2 v[12:13], v3, s[4:5] offset:32
	ds_read2_b32 v[14:15], v2 offset0:11 offset1:22
	ds_read2_b32 v[16:17], v2 offset0:33 offset1:44
	;; [unrolled: 1-line block ×5, first 2 shown]
	ds_read_b32 v3, v24
	ds_read_u16 v24, v2 offset:222
	s_waitcnt lgkmcnt(6)
	v_lshrrev_b32_e32 v30, 16, v14
	s_waitcnt lgkmcnt(4)
	v_lshrrev_b32_e32 v25, 16, v19
	;; [unrolled: 2-line block ×3, first 2 shown]
	v_lshrrev_b32_e32 v27, 16, v21
	s_waitcnt lgkmcnt(2)
	v_lshrrev_b32_e32 v28, 16, v22
	v_lshrrev_b32_e32 v29, 16, v23
	s_waitcnt lgkmcnt(0)
	s_barrier
	s_waitcnt vmcnt(2)
	v_mul_f16_sdwa v31, v4, v30 dst_sel:DWORD dst_unused:UNUSED_PAD src0_sel:WORD_1 src1_sel:DWORD
	v_fma_f16 v31, v4, v14, -v31
	v_mul_f16_sdwa v14, v4, v14 dst_sel:DWORD dst_unused:UNUSED_PAD src0_sel:WORD_1 src1_sel:DWORD
	v_fma_f16 v4, v4, v30, v14
	v_lshrrev_b32_e32 v14, 16, v15
	v_mul_f16_sdwa v30, v5, v14 dst_sel:DWORD dst_unused:UNUSED_PAD src0_sel:WORD_1 src1_sel:DWORD
	v_fma_f16 v30, v5, v15, -v30
	v_mul_f16_sdwa v15, v5, v15 dst_sel:DWORD dst_unused:UNUSED_PAD src0_sel:WORD_1 src1_sel:DWORD
	v_fma_f16 v5, v5, v14, v15
	v_lshrrev_b32_e32 v14, 16, v16
	;; [unrolled: 5-line block ×3, first 2 shown]
	v_mul_f16_sdwa v16, v7, v14 dst_sel:DWORD dst_unused:UNUSED_PAD src0_sel:WORD_1 src1_sel:DWORD
	v_fma_f16 v16, v7, v17, -v16
	v_mul_f16_sdwa v17, v7, v17 dst_sel:DWORD dst_unused:UNUSED_PAD src0_sel:WORD_1 src1_sel:DWORD
	v_fma_f16 v7, v7, v14, v17
	s_waitcnt vmcnt(1)
	v_mul_f16_sdwa v14, v24, v8 dst_sel:DWORD dst_unused:UNUSED_PAD src0_sel:DWORD src1_sel:WORD_1
	v_mul_f16_sdwa v17, v8, v18 dst_sel:DWORD dst_unused:UNUSED_PAD src0_sel:WORD_1 src1_sel:DWORD
	v_fma_f16 v14, v8, v18, -v14
	v_fma_f16 v8, v24, v8, v17
	v_mul_f16_sdwa v17, v25, v9 dst_sel:DWORD dst_unused:UNUSED_PAD src0_sel:DWORD src1_sel:WORD_1
	v_mul_f16_sdwa v18, v19, v9 dst_sel:DWORD dst_unused:UNUSED_PAD src0_sel:DWORD src1_sel:WORD_1
	v_fma_f16 v17, v19, v9, -v17
	v_fma_f16 v9, v25, v9, v18
	v_mul_f16_sdwa v18, v26, v10 dst_sel:DWORD dst_unused:UNUSED_PAD src0_sel:DWORD src1_sel:WORD_1
	v_mul_f16_sdwa v19, v20, v10 dst_sel:DWORD dst_unused:UNUSED_PAD src0_sel:DWORD src1_sel:WORD_1
	;; [unrolled: 4-line block ×3, first 2 shown]
	v_fma_f16 v19, v21, v11, -v19
	v_fma_f16 v11, v27, v11, v20
	s_waitcnt vmcnt(0)
	v_mul_f16_sdwa v20, v28, v12 dst_sel:DWORD dst_unused:UNUSED_PAD src0_sel:DWORD src1_sel:WORD_1
	v_mul_f16_sdwa v21, v22, v12 dst_sel:DWORD dst_unused:UNUSED_PAD src0_sel:DWORD src1_sel:WORD_1
	v_fma_f16 v20, v22, v12, -v20
	v_fma_f16 v12, v28, v12, v21
	v_mul_f16_sdwa v21, v29, v13 dst_sel:DWORD dst_unused:UNUSED_PAD src0_sel:DWORD src1_sel:WORD_1
	v_mul_f16_sdwa v22, v23, v13 dst_sel:DWORD dst_unused:UNUSED_PAD src0_sel:DWORD src1_sel:WORD_1
	v_fma_f16 v21, v23, v13, -v21
	v_fma_f16 v13, v29, v13, v22
	v_add_f16_e32 v22, v31, v3
	v_add_f16_sdwa v23, v4, v3 dst_sel:DWORD dst_unused:UNUSED_PAD src0_sel:DWORD src1_sel:WORD_1
	v_add_f16_e32 v22, v22, v30
	v_add_f16_e32 v23, v23, v5
	;; [unrolled: 1-line block ×17, first 2 shown]
	v_add_f16_sdwa v23, v23, v13 dst_sel:WORD_1 dst_unused:UNUSED_PAD src0_sel:DWORD src1_sel:DWORD
	v_add_f16_e32 v24, v4, v13
	v_or_b32_e32 v22, v23, v22
	v_add_f16_e32 v23, v31, v21
	v_sub_f16_e32 v21, v31, v21
	v_sub_f16_e32 v4, v4, v13
	v_mul_f16_e32 v13, 0xb853, v4
	v_mul_f16_e32 v26, 0xb853, v21
	;; [unrolled: 1-line block ×10, first 2 shown]
	v_fma_f16 v25, v23, s2, -v13
	v_fma_f16 v27, v24, s2, v26
	v_fma_f16 v13, v23, s2, v13
	v_fma_f16 v26, v24, s2, -v26
	v_fma_f16 v29, v23, s0, -v28
	v_fma_f16 v32, v24, s0, v31
	v_fma_f16 v28, v23, s0, v28
	v_fma_f16 v31, v24, s0, -v31
	;; [unrolled: 4-line block ×5, first 2 shown]
	v_add_f16_e32 v23, v5, v12
	v_sub_f16_e32 v5, v5, v12
	v_add_f16_e32 v25, v25, v3
	v_add_f16_sdwa v27, v27, v3 dst_sel:DWORD dst_unused:UNUSED_PAD src0_sel:DWORD src1_sel:WORD_1
	v_add_f16_e32 v13, v13, v3
	v_add_f16_sdwa v26, v26, v3 dst_sel:DWORD dst_unused:UNUSED_PAD src0_sel:DWORD src1_sel:WORD_1
	;; [unrolled: 2-line block ×10, first 2 shown]
	v_add_f16_e32 v21, v30, v20
	v_mul_f16_e32 v12, 0xbb47, v5
	v_sub_f16_e32 v20, v30, v20
	v_fma_f16 v24, v21, s0, -v12
	v_add_f16_e32 v24, v24, v25
	v_mul_f16_e32 v25, 0xbb47, v20
	v_fma_f16 v12, v21, s0, v12
	v_fma_f16 v30, v23, s0, v25
	v_add_f16_e32 v12, v12, v13
	v_fma_f16 v13, v23, s0, -v25
	v_mul_f16_e32 v25, 0xba0c, v5
	v_add_f16_e32 v13, v13, v26
	v_fma_f16 v26, v21, s3, -v25
	v_add_f16_e32 v26, v26, v29
	v_mul_f16_e32 v29, 0xba0c, v20
	v_fma_f16 v25, v21, s3, v25
	v_add_f16_e32 v27, v30, v27
	v_fma_f16 v30, v23, s3, v29
	v_add_f16_e32 v25, v25, v28
	v_fma_f16 v28, v23, s3, -v29
	v_mul_f16_e32 v29, 0x3482, v5
	v_add_f16_e32 v30, v30, v32
	v_add_f16_e32 v28, v28, v31
	v_fma_f16 v31, v21, s10, -v29
	v_mul_f16_e32 v32, 0x3482, v20
	v_fma_f16 v29, v21, s10, v29
	v_add_f16_e32 v31, v31, v34
	v_fma_f16 v34, v23, s10, v32
	v_add_f16_e32 v29, v29, v33
	v_fma_f16 v32, v23, s10, -v32
	v_mul_f16_e32 v33, 0x3beb, v5
	v_add_f16_e32 v34, v34, v36
	v_add_f16_e32 v32, v32, v35
	v_fma_f16 v35, v21, s1, -v33
	v_mul_f16_e32 v36, 0x3beb, v20
	v_fma_f16 v33, v21, s1, v33
	v_mul_f16_e32 v5, 0x3853, v5
	v_add_f16_e32 v35, v35, v38
	v_fma_f16 v38, v23, s1, v36
	v_add_f16_e32 v33, v33, v37
	v_fma_f16 v36, v23, s1, -v36
	v_fma_f16 v37, v21, s2, -v5
	v_mul_f16_e32 v20, 0x3853, v20
	v_fma_f16 v5, v21, s2, v5
	v_add_f16_e32 v36, v36, v39
	v_fma_f16 v39, v23, s2, v20
	v_add_f16_e32 v4, v5, v4
	v_fma_f16 v5, v23, s2, -v20
	v_add_f16_e32 v20, v6, v11
	v_sub_f16_e32 v6, v6, v11
	v_add_f16_e32 v3, v5, v3
	v_add_f16_e32 v5, v15, v19
	v_sub_f16_e32 v15, v15, v19
	v_mul_f16_e32 v11, 0xbbeb, v6
	v_fma_f16 v19, v5, s1, -v11
	v_mul_f16_e32 v21, 0xbbeb, v15
	v_fma_f16 v11, v5, s1, v11
	v_add_f16_e32 v11, v11, v12
	v_fma_f16 v12, v20, s1, -v21
	v_add_f16_e32 v12, v12, v13
	v_mul_f16_e32 v13, 0x3482, v6
	v_fma_f16 v23, v20, s1, v21
	v_fma_f16 v21, v5, s10, -v13
	v_fma_f16 v13, v5, s10, v13
	v_add_f16_e32 v19, v19, v24
	v_mul_f16_e32 v24, 0x3482, v15
	v_add_f16_e32 v13, v13, v25
	v_mul_f16_e32 v25, 0x3b47, v6
	v_add_f16_e32 v23, v23, v27
	v_add_f16_e32 v21, v21, v26
	v_fma_f16 v26, v20, s10, v24
	v_fma_f16 v24, v20, s10, -v24
	v_fma_f16 v27, v5, s0, -v25
	v_fma_f16 v25, v5, s0, v25
	v_add_f16_e32 v24, v24, v28
	v_mul_f16_e32 v28, 0x3b47, v15
	v_add_f16_e32 v25, v25, v29
	v_mul_f16_e32 v29, 0xb853, v6
	v_add_f16_e32 v26, v26, v30
	v_add_f16_e32 v27, v27, v31
	v_fma_f16 v30, v20, s0, v28
	v_fma_f16 v28, v20, s0, -v28
	v_fma_f16 v31, v5, s2, -v29
	v_fma_f16 v29, v5, s2, v29
	v_mul_f16_e32 v6, 0xba0c, v6
	v_add_f16_e32 v28, v28, v32
	v_mul_f16_e32 v32, 0xb853, v15
	v_add_f16_e32 v29, v29, v33
	v_fma_f16 v33, v5, s3, -v6
	v_mul_f16_e32 v15, 0xba0c, v15
	v_fma_f16 v5, v5, s3, v6
	v_add_f16_e32 v4, v5, v4
	v_fma_f16 v5, v20, s3, -v15
	v_add_f16_e32 v6, v7, v10
	v_sub_f16_e32 v7, v7, v10
	v_add_f16_e32 v31, v31, v35
	v_fma_f16 v35, v20, s3, v15
	v_add_f16_e32 v3, v5, v3
	v_add_f16_e32 v5, v16, v18
	v_sub_f16_e32 v15, v16, v18
	v_mul_f16_e32 v10, 0xba0c, v7
	v_fma_f16 v16, v5, s3, -v10
	v_mul_f16_e32 v18, 0xba0c, v15
	v_fma_f16 v10, v5, s3, v10
	v_add_f16_e32 v10, v10, v11
	v_fma_f16 v11, v6, s3, -v18
	v_add_f16_e32 v11, v11, v12
	v_mul_f16_e32 v12, 0x3beb, v7
	v_add_f16_e32 v30, v30, v34
	v_fma_f16 v34, v20, s2, v32
	v_fma_f16 v32, v20, s2, -v32
	v_add_f16_e32 v16, v16, v19
	v_fma_f16 v19, v6, s3, v18
	v_fma_f16 v18, v5, s1, -v12
	v_mul_f16_e32 v20, 0x3beb, v15
	v_fma_f16 v12, v5, s1, v12
	v_add_f16_e32 v18, v18, v21
	v_fma_f16 v21, v6, s1, v20
	v_add_f16_e32 v12, v12, v13
	v_fma_f16 v13, v6, s1, -v20
	v_mul_f16_e32 v20, 0xb853, v7
	v_add_f16_e32 v19, v19, v23
	v_fma_f16 v23, v5, s2, -v20
	v_fma_f16 v20, v5, s2, v20
	v_add_f16_e32 v13, v13, v24
	v_mul_f16_e32 v24, 0xb853, v15
	v_add_f16_e32 v20, v20, v25
	v_mul_f16_e32 v25, 0xb482, v7
	v_add_f16_e32 v21, v21, v26
	v_add_f16_e32 v23, v23, v27
	v_fma_f16 v26, v6, s2, v24
	v_fma_f16 v24, v6, s2, -v24
	v_fma_f16 v27, v5, s10, -v25
	v_fma_f16 v25, v5, s10, v25
	v_mul_f16_e32 v7, 0x3b47, v7
	v_add_f16_e32 v24, v24, v28
	v_mul_f16_e32 v28, 0xb482, v15
	v_add_f16_e32 v25, v25, v29
	v_fma_f16 v29, v5, s0, -v7
	v_mul_f16_e32 v15, 0x3b47, v15
	v_fma_f16 v5, v5, s0, v7
	v_add_f16_e32 v26, v26, v30
	v_add_f16_e32 v27, v27, v31
	v_fma_f16 v30, v6, s10, v28
	v_fma_f16 v28, v6, s10, -v28
	v_fma_f16 v31, v6, s0, v15
	v_add_f16_e32 v4, v5, v4
	v_fma_f16 v5, v6, s0, -v15
	v_add_f16_e32 v6, v8, v9
	v_sub_f16_e32 v8, v8, v9
	v_add_f16_e32 v3, v5, v3
	v_add_f16_e32 v5, v14, v17
	v_sub_f16_e32 v7, v14, v17
	v_mul_f16_e32 v9, 0xb482, v8
	v_fma_f16 v14, v5, s10, -v9
	v_mul_f16_e32 v15, 0xb482, v7
	v_fma_f16 v9, v5, s10, v9
	v_add_f16_e32 v9, v9, v10
	v_fma_f16 v10, v6, s10, -v15
	v_add_f16_e32 v10, v10, v11
	v_mul_f16_e32 v11, 0x3853, v8
	v_add_f16_e32 v14, v14, v16
	v_fma_f16 v16, v6, s10, v15
	v_fma_f16 v15, v5, s2, -v11
	v_mul_f16_e32 v17, 0x3853, v7
	v_fma_f16 v11, v5, s2, v11
	v_add_f16_e32 v11, v11, v12
	v_fma_f16 v12, v6, s2, -v17
	v_add_f16_e32 v12, v12, v13
	v_mul_f16_e32 v13, 0xba0c, v8
	v_add_f16_e32 v15, v15, v18
	v_fma_f16 v18, v6, s2, v17
	v_fma_f16 v17, v5, s3, -v13
	v_fma_f16 v13, v5, s3, v13
	v_add_f16_e32 v16, v16, v19
	v_mul_f16_e32 v19, 0xba0c, v7
	v_add_f16_e32 v13, v13, v20
	v_mul_f16_e32 v20, 0x3b47, v8
	v_add_f16_e32 v18, v18, v21
	v_add_f16_e32 v17, v17, v23
	v_fma_f16 v21, v6, s3, v19
	v_fma_f16 v19, v6, s3, -v19
	v_fma_f16 v23, v5, s0, -v20
	v_fma_f16 v20, v5, s0, v20
	v_mul_f16_e32 v8, 0xbbeb, v8
	v_add_f16_e32 v32, v32, v36
	v_add_f16_e32 v19, v19, v24
	v_mul_f16_e32 v24, 0x3b47, v7
	v_add_f16_e32 v20, v20, v25
	v_fma_f16 v25, v5, s1, -v8
	v_mul_f16_e32 v7, 0xbbeb, v7
	v_fma_f16 v5, v5, s1, v8
	v_add_f16_e32 v38, v38, v40
	v_add_f16_e32 v37, v37, v41
	;; [unrolled: 1-line block ×5, first 2 shown]
	v_fma_f16 v26, v6, s0, v24
	v_fma_f16 v24, v6, s0, -v24
	v_add_f16_e32 v4, v5, v4
	v_fma_f16 v5, v6, s1, -v7
	v_add_f16_e32 v34, v34, v38
	v_add_f16_e32 v33, v33, v37
	;; [unrolled: 1-line block ×9, first 2 shown]
	v_fma_f16 v27, v6, s1, v7
	v_pack_b32_f16 v5, v14, v16
	v_pack_b32_f16 v3, v4, v3
	;; [unrolled: 1-line block ×3, first 2 shown]
	v_add_f16_e32 v26, v26, v30
	v_add_f16_e32 v25, v25, v29
	;; [unrolled: 1-line block ×3, first 2 shown]
	ds_write2_b32 v2, v22, v5 offset1:11
	v_pack_b32_f16 v5, v15, v18
	v_pack_b32_f16 v6, v17, v21
	ds_write2_b32 v2, v3, v4 offset0:66 offset1:77
	v_pack_b32_f16 v3, v13, v19
	v_pack_b32_f16 v4, v11, v12
	ds_write2_b32 v2, v5, v6 offset0:22 offset1:33
	v_pack_b32_f16 v5, v23, v26
	v_pack_b32_f16 v6, v25, v27
	ds_write2_b32 v2, v3, v4 offset0:88 offset1:99
	v_pack_b32_f16 v3, v9, v10
	ds_write2_b32 v2, v5, v6 offset0:44 offset1:55
	ds_write_b32 v2, v3 offset:440
	v_add_u32_e32 v2, s19, v0
	v_cmp_gt_u32_e32 vcc, s33, v2
	s_or_b64 s[0:1], s[8:9], vcc
	s_waitcnt lgkmcnt(0)
	s_barrier
	s_and_saveexec_b64 s[2:3], s[0:1]
	s_cbranch_execz .LBB0_26
; %bb.25:
	v_mad_u64_u32 v[2:3], s[2:3], s16, v0, 0
	s_mul_i32 s0, s7, s34
	s_mul_hi_u32 s1, s6, s34
	v_mov_b32_e32 v4, v3
	s_add_i32 s1, s1, s0
	s_mul_i32 s0, s6, s34
	v_mad_u64_u32 v[4:5], s[2:3], s17, v0, v[4:5]
	v_mov_b32_e32 v3, v4
	v_mul_lo_u32 v4, s18, v1
	v_mul_u32_u24_e32 v0, 0x1e4, v0
	v_lshlrev_b32_e32 v1, 2, v1
	s_lshl_b64 s[0:1], s[0:1], 2
	v_add3_u32 v10, 0, v0, v1
	s_add_u32 s2, s14, s0
	s_addc_u32 s3, s15, s1
	s_lshl_b64 s[0:1], s[24:25], 2
	ds_read2_b32 v[0:1], v10 offset1:11
	s_add_u32 s0, s2, s0
	s_addc_u32 s1, s3, s1
	v_mov_b32_e32 v5, 0
	v_lshl_add_u64 v[2:3], v[2:3], 2, s[0:1]
	v_lshl_add_u64 v[6:7], v[4:5], 2, v[2:3]
	s_waitcnt lgkmcnt(0)
	global_store_dword v[6:7], v0, off
	ds_read2_b32 v[6:7], v10 offset0:22 offset1:33
	s_mul_i32 s0, s18, 11
	v_add_u32_e32 v4, s0, v4
	v_lshl_add_u64 v[8:9], v[4:5], 2, v[2:3]
	v_add_u32_e32 v4, s0, v4
	global_store_dword v[8:9], v1, off
	v_lshl_add_u64 v[0:1], v[4:5], 2, v[2:3]
	s_waitcnt lgkmcnt(0)
	global_store_dword v[0:1], v6, off
	ds_read2_b32 v[0:1], v10 offset0:44 offset1:55
	v_add_u32_e32 v4, s0, v4
	v_lshl_add_u64 v[8:9], v[4:5], 2, v[2:3]
	v_add_u32_e32 v4, s0, v4
	global_store_dword v[8:9], v7, off
	v_lshl_add_u64 v[6:7], v[4:5], 2, v[2:3]
	s_waitcnt lgkmcnt(0)
	global_store_dword v[6:7], v0, off
	ds_read2_b32 v[6:7], v10 offset0:66 offset1:77
	v_add_u32_e32 v4, s0, v4
	v_lshl_add_u64 v[8:9], v[4:5], 2, v[2:3]
	v_add_u32_e32 v4, s0, v4
	global_store_dword v[8:9], v1, off
	v_lshl_add_u64 v[0:1], v[4:5], 2, v[2:3]
	s_waitcnt lgkmcnt(0)
	global_store_dword v[0:1], v6, off
	v_add_u32_e32 v4, s0, v4
	ds_read2_b32 v[0:1], v10 offset0:88 offset1:99
	v_lshl_add_u64 v[8:9], v[4:5], 2, v[2:3]
	global_store_dword v[8:9], v7, off
	ds_read_b32 v8, v10 offset:440
	v_add_u32_e32 v4, s0, v4
	v_lshl_add_u64 v[6:7], v[4:5], 2, v[2:3]
	v_add_u32_e32 v4, s0, v4
	s_waitcnt lgkmcnt(1)
	global_store_dword v[6:7], v0, off
	v_lshl_add_u64 v[6:7], v[4:5], 2, v[2:3]
	v_add_u32_e32 v4, s0, v4
	global_store_dword v[6:7], v1, off
	v_lshl_add_u64 v[0:1], v[4:5], 2, v[2:3]
	s_waitcnt lgkmcnt(0)
	global_store_dword v[0:1], v8, off
.LBB0_26:
	s_endpgm
	.section	.rodata,"a",@progbits
	.p2align	6, 0x0
	.amdhsa_kernel fft_rtc_fwd_len121_factors_11_11_wgs_121_tpt_11_half_op_CI_CI_sbrc_unaligned
		.amdhsa_group_segment_fixed_size 0
		.amdhsa_private_segment_fixed_size 0
		.amdhsa_kernarg_size 104
		.amdhsa_user_sgpr_count 2
		.amdhsa_user_sgpr_dispatch_ptr 0
		.amdhsa_user_sgpr_queue_ptr 0
		.amdhsa_user_sgpr_kernarg_segment_ptr 1
		.amdhsa_user_sgpr_dispatch_id 0
		.amdhsa_user_sgpr_kernarg_preload_length 0
		.amdhsa_user_sgpr_kernarg_preload_offset 0
		.amdhsa_user_sgpr_private_segment_size 0
		.amdhsa_uses_dynamic_stack 0
		.amdhsa_enable_private_segment 0
		.amdhsa_system_sgpr_workgroup_id_x 1
		.amdhsa_system_sgpr_workgroup_id_y 0
		.amdhsa_system_sgpr_workgroup_id_z 0
		.amdhsa_system_sgpr_workgroup_info 0
		.amdhsa_system_vgpr_workitem_id 0
		.amdhsa_next_free_vgpr 43
		.amdhsa_next_free_sgpr 49
		.amdhsa_accum_offset 44
		.amdhsa_reserve_vcc 1
		.amdhsa_float_round_mode_32 0
		.amdhsa_float_round_mode_16_64 0
		.amdhsa_float_denorm_mode_32 3
		.amdhsa_float_denorm_mode_16_64 3
		.amdhsa_dx10_clamp 1
		.amdhsa_ieee_mode 1
		.amdhsa_fp16_overflow 0
		.amdhsa_tg_split 0
		.amdhsa_exception_fp_ieee_invalid_op 0
		.amdhsa_exception_fp_denorm_src 0
		.amdhsa_exception_fp_ieee_div_zero 0
		.amdhsa_exception_fp_ieee_overflow 0
		.amdhsa_exception_fp_ieee_underflow 0
		.amdhsa_exception_fp_ieee_inexact 0
		.amdhsa_exception_int_div_zero 0
	.end_amdhsa_kernel
	.text
.Lfunc_end0:
	.size	fft_rtc_fwd_len121_factors_11_11_wgs_121_tpt_11_half_op_CI_CI_sbrc_unaligned, .Lfunc_end0-fft_rtc_fwd_len121_factors_11_11_wgs_121_tpt_11_half_op_CI_CI_sbrc_unaligned
                                        ; -- End function
	.section	.AMDGPU.csdata,"",@progbits
; Kernel info:
; codeLenInByte = 7224
; NumSgprs: 55
; NumVgprs: 43
; NumAgprs: 0
; TotalNumVgprs: 43
; ScratchSize: 0
; MemoryBound: 0
; FloatMode: 240
; IeeeMode: 1
; LDSByteSize: 0 bytes/workgroup (compile time only)
; SGPRBlocks: 6
; VGPRBlocks: 5
; NumSGPRsForWavesPerEU: 55
; NumVGPRsForWavesPerEU: 43
; AccumOffset: 44
; Occupancy: 8
; WaveLimiterHint : 1
; COMPUTE_PGM_RSRC2:SCRATCH_EN: 0
; COMPUTE_PGM_RSRC2:USER_SGPR: 2
; COMPUTE_PGM_RSRC2:TRAP_HANDLER: 0
; COMPUTE_PGM_RSRC2:TGID_X_EN: 1
; COMPUTE_PGM_RSRC2:TGID_Y_EN: 0
; COMPUTE_PGM_RSRC2:TGID_Z_EN: 0
; COMPUTE_PGM_RSRC2:TIDIG_COMP_CNT: 0
; COMPUTE_PGM_RSRC3_GFX90A:ACCUM_OFFSET: 10
; COMPUTE_PGM_RSRC3_GFX90A:TG_SPLIT: 0
	.text
	.p2alignl 6, 3212836864
	.fill 256, 4, 3212836864
	.type	__hip_cuid_b683d2b6cb78b313,@object ; @__hip_cuid_b683d2b6cb78b313
	.section	.bss,"aw",@nobits
	.globl	__hip_cuid_b683d2b6cb78b313
__hip_cuid_b683d2b6cb78b313:
	.byte	0                               ; 0x0
	.size	__hip_cuid_b683d2b6cb78b313, 1

	.ident	"AMD clang version 19.0.0git (https://github.com/RadeonOpenCompute/llvm-project roc-6.4.0 25133 c7fe45cf4b819c5991fe208aaa96edf142730f1d)"
	.section	".note.GNU-stack","",@progbits
	.addrsig
	.addrsig_sym __hip_cuid_b683d2b6cb78b313
	.amdgpu_metadata
---
amdhsa.kernels:
  - .agpr_count:     0
    .args:
      - .actual_access:  read_only
        .address_space:  global
        .offset:         0
        .size:           8
        .value_kind:     global_buffer
      - .offset:         8
        .size:           8
        .value_kind:     by_value
      - .actual_access:  read_only
        .address_space:  global
        .offset:         16
        .size:           8
        .value_kind:     global_buffer
      - .actual_access:  read_only
        .address_space:  global
        .offset:         24
        .size:           8
        .value_kind:     global_buffer
      - .actual_access:  read_only
        .address_space:  global
        .offset:         32
        .size:           8
        .value_kind:     global_buffer
      - .offset:         40
        .size:           8
        .value_kind:     by_value
      - .actual_access:  read_only
        .address_space:  global
        .offset:         48
        .size:           8
        .value_kind:     global_buffer
      - .actual_access:  read_only
        .address_space:  global
        .offset:         56
        .size:           8
        .value_kind:     global_buffer
      - .offset:         64
        .size:           4
        .value_kind:     by_value
      - .actual_access:  read_only
        .address_space:  global
        .offset:         72
        .size:           8
        .value_kind:     global_buffer
      - .actual_access:  read_only
        .address_space:  global
        .offset:         80
        .size:           8
        .value_kind:     global_buffer
      - .actual_access:  read_only
        .address_space:  global
        .offset:         88
        .size:           8
        .value_kind:     global_buffer
      - .actual_access:  write_only
        .address_space:  global
        .offset:         96
        .size:           8
        .value_kind:     global_buffer
    .group_segment_fixed_size: 0
    .kernarg_segment_align: 8
    .kernarg_segment_size: 104
    .language:       OpenCL C
    .language_version:
      - 2
      - 0
    .max_flat_workgroup_size: 121
    .name:           fft_rtc_fwd_len121_factors_11_11_wgs_121_tpt_11_half_op_CI_CI_sbrc_unaligned
    .private_segment_fixed_size: 0
    .sgpr_count:     55
    .sgpr_spill_count: 0
    .symbol:         fft_rtc_fwd_len121_factors_11_11_wgs_121_tpt_11_half_op_CI_CI_sbrc_unaligned.kd
    .uniform_work_group_size: 1
    .uses_dynamic_stack: false
    .vgpr_count:     43
    .vgpr_spill_count: 0
    .wavefront_size: 64
amdhsa.target:   amdgcn-amd-amdhsa--gfx950
amdhsa.version:
  - 1
  - 2
...

	.end_amdgpu_metadata
